;; amdgpu-corpus repo=ROCm/rocFFT kind=compiled arch=gfx906 opt=O3
	.text
	.amdgcn_target "amdgcn-amd-amdhsa--gfx906"
	.amdhsa_code_object_version 6
	.protected	fft_rtc_fwd_len432_factors_3_16_3_3_wgs_54_tpt_27_halfLds_sp_op_CI_CI_unitstride_sbrr_R2C_dirReg ; -- Begin function fft_rtc_fwd_len432_factors_3_16_3_3_wgs_54_tpt_27_halfLds_sp_op_CI_CI_unitstride_sbrr_R2C_dirReg
	.globl	fft_rtc_fwd_len432_factors_3_16_3_3_wgs_54_tpt_27_halfLds_sp_op_CI_CI_unitstride_sbrr_R2C_dirReg
	.p2align	8
	.type	fft_rtc_fwd_len432_factors_3_16_3_3_wgs_54_tpt_27_halfLds_sp_op_CI_CI_unitstride_sbrr_R2C_dirReg,@function
fft_rtc_fwd_len432_factors_3_16_3_3_wgs_54_tpt_27_halfLds_sp_op_CI_CI_unitstride_sbrr_R2C_dirReg: ; @fft_rtc_fwd_len432_factors_3_16_3_3_wgs_54_tpt_27_halfLds_sp_op_CI_CI_unitstride_sbrr_R2C_dirReg
; %bb.0:
	s_load_dwordx4 s[8:11], s[4:5], 0x58
	s_load_dwordx4 s[12:15], s[4:5], 0x0
	;; [unrolled: 1-line block ×3, first 2 shown]
	v_mul_u32_u24_e32 v1, 0x97c, v0
	v_lshrrev_b32_e32 v7, 16, v1
	v_mov_b32_e32 v3, 0
	s_waitcnt lgkmcnt(0)
	v_cmp_lt_u64_e64 s[0:1], s[14:15], 2
	v_mov_b32_e32 v1, 0
	v_lshl_add_u32 v5, s6, 1, v7
	v_mov_b32_e32 v6, v3
	s_and_b64 vcc, exec, s[0:1]
	v_mov_b32_e32 v2, 0
	s_cbranch_vccnz .LBB0_8
; %bb.1:
	s_load_dwordx2 s[0:1], s[4:5], 0x10
	s_add_u32 s2, s18, 8
	s_addc_u32 s3, s19, 0
	s_add_u32 s6, s16, 8
	v_mov_b32_e32 v1, 0
	s_addc_u32 s7, s17, 0
	v_mov_b32_e32 v2, 0
	s_waitcnt lgkmcnt(0)
	s_add_u32 s20, s0, 8
	v_mov_b32_e32 v29, v2
	s_addc_u32 s21, s1, 0
	s_mov_b64 s[22:23], 1
	v_mov_b32_e32 v28, v1
.LBB0_2:                                ; =>This Inner Loop Header: Depth=1
	s_load_dwordx2 s[24:25], s[20:21], 0x0
                                        ; implicit-def: $vgpr32_vgpr33
	s_waitcnt lgkmcnt(0)
	v_or_b32_e32 v4, s25, v6
	v_cmp_ne_u64_e32 vcc, 0, v[3:4]
	s_and_saveexec_b64 s[0:1], vcc
	s_xor_b64 s[26:27], exec, s[0:1]
	s_cbranch_execz .LBB0_4
; %bb.3:                                ;   in Loop: Header=BB0_2 Depth=1
	v_cvt_f32_u32_e32 v4, s24
	v_cvt_f32_u32_e32 v8, s25
	s_sub_u32 s0, 0, s24
	s_subb_u32 s1, 0, s25
	v_mac_f32_e32 v4, 0x4f800000, v8
	v_rcp_f32_e32 v4, v4
	v_mul_f32_e32 v4, 0x5f7ffffc, v4
	v_mul_f32_e32 v8, 0x2f800000, v4
	v_trunc_f32_e32 v8, v8
	v_mac_f32_e32 v4, 0xcf800000, v8
	v_cvt_u32_f32_e32 v8, v8
	v_cvt_u32_f32_e32 v4, v4
	v_mul_lo_u32 v9, s0, v8
	v_mul_hi_u32 v10, s0, v4
	v_mul_lo_u32 v12, s1, v4
	v_mul_lo_u32 v11, s0, v4
	v_add_u32_e32 v9, v10, v9
	v_add_u32_e32 v9, v9, v12
	v_mul_hi_u32 v10, v4, v11
	v_mul_lo_u32 v12, v4, v9
	v_mul_hi_u32 v14, v4, v9
	v_mul_hi_u32 v13, v8, v11
	v_mul_lo_u32 v11, v8, v11
	v_mul_hi_u32 v15, v8, v9
	v_add_co_u32_e32 v10, vcc, v10, v12
	v_addc_co_u32_e32 v12, vcc, 0, v14, vcc
	v_mul_lo_u32 v9, v8, v9
	v_add_co_u32_e32 v10, vcc, v10, v11
	v_addc_co_u32_e32 v10, vcc, v12, v13, vcc
	v_addc_co_u32_e32 v11, vcc, 0, v15, vcc
	v_add_co_u32_e32 v9, vcc, v10, v9
	v_addc_co_u32_e32 v10, vcc, 0, v11, vcc
	v_add_co_u32_e32 v4, vcc, v4, v9
	v_addc_co_u32_e32 v8, vcc, v8, v10, vcc
	v_mul_lo_u32 v9, s0, v8
	v_mul_hi_u32 v10, s0, v4
	v_mul_lo_u32 v11, s1, v4
	v_mul_lo_u32 v12, s0, v4
	v_add_u32_e32 v9, v10, v9
	v_add_u32_e32 v9, v9, v11
	v_mul_lo_u32 v13, v4, v9
	v_mul_hi_u32 v14, v4, v12
	v_mul_hi_u32 v15, v4, v9
	;; [unrolled: 1-line block ×3, first 2 shown]
	v_mul_lo_u32 v12, v8, v12
	v_mul_hi_u32 v10, v8, v9
	v_add_co_u32_e32 v13, vcc, v14, v13
	v_addc_co_u32_e32 v14, vcc, 0, v15, vcc
	v_mul_lo_u32 v9, v8, v9
	v_add_co_u32_e32 v12, vcc, v13, v12
	v_addc_co_u32_e32 v11, vcc, v14, v11, vcc
	v_addc_co_u32_e32 v10, vcc, 0, v10, vcc
	v_add_co_u32_e32 v9, vcc, v11, v9
	v_addc_co_u32_e32 v10, vcc, 0, v10, vcc
	v_add_co_u32_e32 v4, vcc, v4, v9
	v_addc_co_u32_e32 v10, vcc, v8, v10, vcc
	v_mad_u64_u32 v[8:9], s[0:1], v5, v10, 0
	v_mul_hi_u32 v11, v5, v4
	v_add_co_u32_e32 v12, vcc, v11, v8
	v_addc_co_u32_e32 v13, vcc, 0, v9, vcc
	v_mad_u64_u32 v[8:9], s[0:1], v6, v4, 0
	v_mad_u64_u32 v[10:11], s[0:1], v6, v10, 0
	v_add_co_u32_e32 v4, vcc, v12, v8
	v_addc_co_u32_e32 v4, vcc, v13, v9, vcc
	v_addc_co_u32_e32 v8, vcc, 0, v11, vcc
	v_add_co_u32_e32 v4, vcc, v4, v10
	v_addc_co_u32_e32 v10, vcc, 0, v8, vcc
	v_mul_lo_u32 v11, s25, v4
	v_mul_lo_u32 v12, s24, v10
	v_mad_u64_u32 v[8:9], s[0:1], s24, v4, 0
	v_add3_u32 v9, v9, v12, v11
	v_sub_u32_e32 v11, v6, v9
	v_mov_b32_e32 v12, s25
	v_sub_co_u32_e32 v8, vcc, v5, v8
	v_subb_co_u32_e64 v11, s[0:1], v11, v12, vcc
	v_subrev_co_u32_e64 v12, s[0:1], s24, v8
	v_subbrev_co_u32_e64 v11, s[0:1], 0, v11, s[0:1]
	v_cmp_le_u32_e64 s[0:1], s25, v11
	v_cndmask_b32_e64 v13, 0, -1, s[0:1]
	v_cmp_le_u32_e64 s[0:1], s24, v12
	v_cndmask_b32_e64 v12, 0, -1, s[0:1]
	v_cmp_eq_u32_e64 s[0:1], s25, v11
	v_cndmask_b32_e64 v11, v13, v12, s[0:1]
	v_add_co_u32_e64 v12, s[0:1], 2, v4
	v_addc_co_u32_e64 v13, s[0:1], 0, v10, s[0:1]
	v_add_co_u32_e64 v14, s[0:1], 1, v4
	v_addc_co_u32_e64 v15, s[0:1], 0, v10, s[0:1]
	v_subb_co_u32_e32 v9, vcc, v6, v9, vcc
	v_cmp_ne_u32_e64 s[0:1], 0, v11
	v_cmp_le_u32_e32 vcc, s25, v9
	v_cndmask_b32_e64 v11, v15, v13, s[0:1]
	v_cndmask_b32_e64 v13, 0, -1, vcc
	v_cmp_le_u32_e32 vcc, s24, v8
	v_cndmask_b32_e64 v8, 0, -1, vcc
	v_cmp_eq_u32_e32 vcc, s25, v9
	v_cndmask_b32_e32 v8, v13, v8, vcc
	v_cmp_ne_u32_e32 vcc, 0, v8
	v_cndmask_b32_e64 v8, v14, v12, s[0:1]
	v_cndmask_b32_e32 v33, v10, v11, vcc
	v_cndmask_b32_e32 v32, v4, v8, vcc
.LBB0_4:                                ;   in Loop: Header=BB0_2 Depth=1
	s_andn2_saveexec_b64 s[0:1], s[26:27]
	s_cbranch_execz .LBB0_6
; %bb.5:                                ;   in Loop: Header=BB0_2 Depth=1
	v_cvt_f32_u32_e32 v4, s24
	s_sub_i32 s26, 0, s24
	v_mov_b32_e32 v33, v3
	v_rcp_iflag_f32_e32 v4, v4
	v_mul_f32_e32 v4, 0x4f7ffffe, v4
	v_cvt_u32_f32_e32 v4, v4
	v_mul_lo_u32 v8, s26, v4
	v_mul_hi_u32 v8, v4, v8
	v_add_u32_e32 v4, v4, v8
	v_mul_hi_u32 v4, v5, v4
	v_mul_lo_u32 v8, v4, s24
	v_add_u32_e32 v9, 1, v4
	v_sub_u32_e32 v8, v5, v8
	v_subrev_u32_e32 v10, s24, v8
	v_cmp_le_u32_e32 vcc, s24, v8
	v_cndmask_b32_e32 v8, v8, v10, vcc
	v_cndmask_b32_e32 v4, v4, v9, vcc
	v_add_u32_e32 v9, 1, v4
	v_cmp_le_u32_e32 vcc, s24, v8
	v_cndmask_b32_e32 v32, v4, v9, vcc
.LBB0_6:                                ;   in Loop: Header=BB0_2 Depth=1
	s_or_b64 exec, exec, s[0:1]
	v_mul_lo_u32 v4, v33, s24
	v_mul_lo_u32 v10, v32, s25
	v_mad_u64_u32 v[8:9], s[0:1], v32, s24, 0
	s_load_dwordx2 s[0:1], s[6:7], 0x0
	s_load_dwordx2 s[24:25], s[2:3], 0x0
	v_add3_u32 v4, v9, v10, v4
	v_sub_co_u32_e32 v5, vcc, v5, v8
	v_subb_co_u32_e32 v4, vcc, v6, v4, vcc
	s_waitcnt lgkmcnt(0)
	v_mul_lo_u32 v6, s0, v4
	v_mul_lo_u32 v8, s1, v5
	v_mad_u64_u32 v[1:2], s[0:1], s0, v5, v[1:2]
	v_mul_lo_u32 v4, s24, v4
	v_mul_lo_u32 v9, s25, v5
	v_mad_u64_u32 v[28:29], s[0:1], s24, v5, v[28:29]
	s_add_u32 s22, s22, 1
	s_addc_u32 s23, s23, 0
	s_add_u32 s2, s2, 8
	v_add3_u32 v29, v9, v29, v4
	s_addc_u32 s3, s3, 0
	v_mov_b32_e32 v4, s14
	s_add_u32 s6, s6, 8
	v_mov_b32_e32 v5, s15
	s_addc_u32 s7, s7, 0
	v_cmp_ge_u64_e32 vcc, s[22:23], v[4:5]
	s_add_u32 s20, s20, 8
	v_add3_u32 v2, v8, v2, v6
	s_addc_u32 s21, s21, 0
	s_cbranch_vccnz .LBB0_9
; %bb.7:                                ;   in Loop: Header=BB0_2 Depth=1
	v_mov_b32_e32 v5, v32
	v_mov_b32_e32 v6, v33
	s_branch .LBB0_2
.LBB0_8:
	v_mov_b32_e32 v29, v2
	v_mov_b32_e32 v33, v6
	;; [unrolled: 1-line block ×4, first 2 shown]
.LBB0_9:
	s_load_dwordx2 s[2:3], s[4:5], 0x28
	s_lshl_b64 s[6:7], s[14:15], 3
	s_add_u32 s4, s18, s6
	v_and_b32_e32 v3, 1, v7
	s_addc_u32 s5, s19, s7
	s_waitcnt lgkmcnt(0)
	v_cmp_gt_u64_e32 vcc, s[2:3], v[32:33]
	v_cmp_le_u64_e64 s[2:3], s[2:3], v[32:33]
	v_cmp_eq_u32_e64 s[0:1], 1, v3
	v_mov_b32_e32 v3, 0x1b1
                                        ; implicit-def: $vgpr30
                                        ; implicit-def: $vgpr34
                                        ; implicit-def: $vgpr39
                                        ; implicit-def: $vgpr41
                                        ; implicit-def: $vgpr38
                                        ; implicit-def: $vgpr36
	s_and_saveexec_b64 s[14:15], s[2:3]
	s_xor_b64 s[2:3], exec, s[14:15]
; %bb.10:
	s_mov_b32 s14, 0x97b425f
	v_mul_hi_u32 v1, v0, s14
	v_mul_u32_u24_e32 v1, 27, v1
	v_sub_u32_e32 v30, v0, v1
	v_add_u32_e32 v34, 27, v30
	v_add_u32_e32 v39, 54, v30
	;; [unrolled: 1-line block ×5, first 2 shown]
                                        ; implicit-def: $vgpr0
                                        ; implicit-def: $vgpr1_vgpr2
; %bb.11:
	s_or_saveexec_b64 s[2:3], s[2:3]
	v_cndmask_b32_e64 v3, 0, v3, s[0:1]
	v_lshlrev_b32_e32 v37, 3, v3
	s_xor_b64 exec, exec, s[2:3]
	s_cbranch_execz .LBB0_13
; %bb.12:
	s_add_u32 s0, s16, s6
	s_addc_u32 s1, s17, s7
	s_load_dwordx2 s[0:1], s[0:1], 0x0
	s_mov_b32 s6, 0x97b425f
	v_mul_hi_u32 v5, v0, s6
	s_waitcnt lgkmcnt(0)
	v_mul_lo_u32 v6, s1, v32
	v_mul_lo_u32 v7, s0, v33
	v_mad_u64_u32 v[3:4], s[0:1], s0, v32, 0
	v_mul_u32_u24_e32 v5, 27, v5
	v_sub_u32_e32 v30, v0, v5
	v_add3_u32 v4, v4, v7, v6
	v_lshlrev_b64 v[3:4], 3, v[3:4]
	v_mov_b32_e32 v0, s9
	v_add_co_u32_e64 v3, s[0:1], s8, v3
	v_addc_co_u32_e64 v4, s[0:1], v0, v4, s[0:1]
	v_lshlrev_b64 v[0:1], 3, v[1:2]
	v_lshlrev_b32_e32 v31, 3, v30
	v_add_co_u32_e64 v0, s[0:1], v3, v0
	v_addc_co_u32_e64 v1, s[0:1], v4, v1, s[0:1]
	v_add_co_u32_e64 v0, s[0:1], v0, v31
	v_addc_co_u32_e64 v1, s[0:1], 0, v1, s[0:1]
	global_load_dwordx2 v[2:3], v[0:1], off
	global_load_dwordx2 v[4:5], v[0:1], off offset:216
	global_load_dwordx2 v[6:7], v[0:1], off offset:432
	;; [unrolled: 1-line block ×14, first 2 shown]
	s_nop 0
	global_load_dwordx2 v[0:1], v[0:1], off offset:3240
	v_add_u32_e32 v34, 27, v30
	v_add_u32_e32 v39, 54, v30
	;; [unrolled: 1-line block ×5, first 2 shown]
	v_add3_u32 v31, 0, v37, v31
	v_add_u32_e32 v35, 0x800, v31
	s_waitcnt vmcnt(14)
	ds_write2_b64 v31, v[2:3], v[4:5] offset1:27
	s_waitcnt vmcnt(12)
	ds_write2_b64 v31, v[6:7], v[8:9] offset0:54 offset1:81
	s_waitcnt vmcnt(10)
	ds_write2_b64 v31, v[10:11], v[12:13] offset0:108 offset1:135
	;; [unrolled: 2-line block ×7, first 2 shown]
.LBB0_13:
	s_or_b64 exec, exec, s[2:3]
	v_lshlrev_b32_e32 v31, 3, v30
	v_add_u32_e32 v0, 0, v31
	v_add_u32_e32 v35, v0, v37
	s_load_dwordx2 s[4:5], s[4:5], 0x0
	s_waitcnt lgkmcnt(0)
	; wave barrier
	s_waitcnt lgkmcnt(0)
	v_add_u32_e32 v20, 0x800, v35
	ds_read2_b64 v[10:13], v35 offset0:27 offset1:54
	ds_read2_b64 v[0:3], v35 offset0:171 offset1:198
	;; [unrolled: 1-line block ×3, first 2 shown]
	v_add_u32_e32 v56, 0, v37
	v_add_u32_e32 v57, v56, v31
	v_cmp_gt_u32_e64 s[0:1], 9, v30
	s_waitcnt lgkmcnt(1)
	v_add_f32_e32 v8, v10, v0
	s_waitcnt lgkmcnt(0)
	v_add_f32_e32 v27, v0, v4
	v_sub_f32_e32 v40, v1, v5
	v_add_f32_e32 v9, v11, v1
	v_add_f32_e32 v48, v1, v5
	v_sub_f32_e32 v49, v0, v4
	v_add_f32_e32 v25, v12, v2
	;; [unrolled: 3-line block ×3, first 2 shown]
	v_add_f32_e32 v52, v3, v7
	v_sub_f32_e32 v53, v2, v6
	ds_read2_b64 v[14:17], v35 offset0:81 offset1:108
	ds_read2_b64 v[0:3], v35 offset0:225 offset1:252
	;; [unrolled: 1-line block ×3, first 2 shown]
	v_add_f32_e32 v18, v8, v4
	v_add_f32_e32 v19, v9, v5
	v_add_f32_e32 v25, v25, v6
	s_waitcnt lgkmcnt(1)
	v_add_f32_e32 v4, v14, v0
	v_add_f32_e32 v5, v15, v1
	;; [unrolled: 1-line block ×3, first 2 shown]
	s_waitcnt lgkmcnt(0)
	v_add_f32_e32 v54, v0, v21
	v_sub_f32_e32 v55, v1, v22
	v_add_f32_e32 v58, v1, v22
	v_sub_f32_e32 v59, v0, v21
	v_add_f32_e32 v8, v16, v2
	v_add_f32_e32 v60, v2, v23
	v_sub_f32_e32 v61, v3, v24
	v_add_f32_e32 v9, v17, v3
	;; [unrolled: 3-line block ×3, first 2 shown]
	v_add_f32_e32 v22, v5, v22
	ds_read2_b64 v[0:3], v35 offset0:135 offset1:144
	ds_read_b64 v[42:43], v57
	ds_read2_b64 v[4:7], v20 offset0:23 offset1:32
	v_add_f32_e32 v23, v8, v23
	v_add_f32_e32 v24, v9, v24
	ds_read_b64 v[8:9], v35 offset:3384
	s_waitcnt lgkmcnt(2)
	v_add_f32_e32 v44, v42, v2
	s_waitcnt lgkmcnt(1)
	v_add_f32_e32 v45, v2, v6
	v_add_f32_e32 v46, v3, v7
	v_fma_f32 v42, -0.5, v45, v42
	v_add_f32_e32 v45, v43, v3
	v_fmac_f32_e32 v43, -0.5, v46
	v_sub_f32_e32 v3, v3, v7
	v_mov_b32_e32 v46, v42
	v_mov_b32_e32 v47, v43
	v_sub_f32_e32 v2, v2, v6
	v_add_f32_e32 v44, v44, v6
	v_add_f32_e32 v45, v45, v7
	v_fmac_f32_e32 v46, 0x3f5db3d7, v3
	v_fmac_f32_e32 v47, 0xbf5db3d7, v2
	v_mad_u32_u24 v6, v30, 24, v56
	v_fmac_f32_e32 v42, 0xbf5db3d7, v3
	v_fmac_f32_e32 v43, 0x3f5db3d7, v2
	v_fma_f32 v2, -0.5, v27, v10
	v_fma_f32 v3, -0.5, v48, v11
	s_waitcnt lgkmcnt(0)
	; wave barrier
	s_waitcnt lgkmcnt(0)
	ds_write2_b64 v6, v[44:45], v[46:47] offset1:1
	ds_write_b64 v6, v[42:43] offset:16
	v_mov_b32_e32 v6, v2
	v_mov_b32_e32 v7, v3
	v_fmac_f32_e32 v6, 0x3f5db3d7, v40
	v_fmac_f32_e32 v7, 0xbf5db3d7, v49
	v_mad_i32_i24 v10, v34, 24, v56
	v_fmac_f32_e32 v2, 0xbf5db3d7, v40
	v_fmac_f32_e32 v3, 0x3f5db3d7, v49
	v_fma_f32 v12, -0.5, v50, v12
	v_fmac_f32_e32 v13, -0.5, v52
	ds_write2_b64 v10, v[18:19], v[6:7] offset1:1
	ds_write_b64 v10, v[2:3] offset:16
	v_mov_b32_e32 v6, v12
	v_mov_b32_e32 v7, v13
	v_mad_i32_i24 v2, v39, 24, 0
	v_fmac_f32_e32 v6, 0x3f5db3d7, v51
	v_fmac_f32_e32 v7, 0xbf5db3d7, v53
	v_add_u32_e32 v3, v2, v37
	ds_write2_b64 v3, v[25:26], v[6:7] offset1:1
	v_fmac_f32_e32 v12, 0xbf5db3d7, v51
	v_fmac_f32_e32 v13, 0x3f5db3d7, v53
	v_fma_f32 v6, -0.5, v54, v14
	v_fma_f32 v7, -0.5, v58, v15
	ds_write_b64 v3, v[12:13] offset:16
	v_mov_b32_e32 v10, v6
	v_mov_b32_e32 v11, v7
	v_mad_i32_i24 v3, v41, 24, 0
	v_fmac_f32_e32 v10, 0x3f5db3d7, v55
	v_fmac_f32_e32 v11, 0xbf5db3d7, v59
	v_add_u32_e32 v12, v3, v37
	v_fmac_f32_e32 v6, 0xbf5db3d7, v55
	v_fmac_f32_e32 v7, 0x3f5db3d7, v59
	v_fma_f32 v16, -0.5, v60, v16
	v_fmac_f32_e32 v17, -0.5, v62
	ds_write2_b64 v12, v[21:22], v[10:11] offset1:1
	ds_write_b64 v12, v[6:7] offset:16
	v_mov_b32_e32 v6, v16
	v_mov_b32_e32 v7, v17
	v_mad_i32_i24 v10, v38, 24, 0
	v_fmac_f32_e32 v6, 0x3f5db3d7, v61
	v_fmac_f32_e32 v7, 0xbf5db3d7, v63
	v_add_u32_e32 v11, v10, v37
	ds_write2_b64 v11, v[23:24], v[6:7] offset1:1
	v_add_f32_e32 v6, v4, v8
	v_fma_f32 v6, -0.5, v6, v0
	v_sub_f32_e32 v7, v5, v9
	v_mov_b32_e32 v42, v6
	v_fmac_f32_e32 v42, 0x3f5db3d7, v7
	v_fmac_f32_e32 v6, 0xbf5db3d7, v7
	v_add_f32_e32 v7, v5, v9
	v_fmac_f32_e32 v16, 0xbf5db3d7, v61
	v_fmac_f32_e32 v17, 0x3f5db3d7, v63
	v_fma_f32 v7, -0.5, v7, v1
	ds_write_b64 v11, v[16:17] offset:16
	v_mov_b32_e32 v43, v7
	v_sub_f32_e32 v11, v4, v8
	v_fmac_f32_e32 v43, 0xbf5db3d7, v11
	v_fmac_f32_e32 v7, 0x3f5db3d7, v11
	s_and_saveexec_b64 s[2:3], s[0:1]
	s_cbranch_execz .LBB0_15
; %bb.14:
	v_add_f32_e32 v1, v1, v5
	v_add_f32_e32 v0, v0, v4
	v_mul_i32_i24_e32 v4, 24, v36
	v_add_f32_e32 v1, v1, v9
	v_add_f32_e32 v0, v0, v8
	v_add3_u32 v4, 0, v4, v37
	ds_write2_b64 v4, v[0:1], v[42:43] offset1:1
	ds_write_b64 v4, v[6:7] offset:16
.LBB0_15:
	s_or_b64 exec, exec, s[2:3]
	s_movk_i32 s6, 0xab
	v_mul_lo_u16_sdwa v0, v30, s6 dst_sel:DWORD dst_unused:UNUSED_PAD src0_sel:BYTE_0 src1_sel:DWORD
	v_lshrrev_b16_e32 v27, 9, v0
	v_mul_lo_u16_e32 v0, 3, v27
	v_sub_u16_e32 v82, v30, v0
	v_mov_b32_e32 v0, 15
	v_mul_u32_u24_sdwa v0, v82, v0 dst_sel:DWORD dst_unused:UNUSED_PAD src0_sel:BYTE_0 src1_sel:DWORD
	v_lshlrev_b32_e32 v0, 3, v0
	s_waitcnt lgkmcnt(0)
	; wave barrier
	s_waitcnt lgkmcnt(0)
	global_load_dwordx4 v[11:14], v0, s[12:13]
	global_load_dwordx4 v[15:18], v0, s[12:13] offset:16
	global_load_dwordx4 v[21:24], v0, s[12:13] offset:32
	;; [unrolled: 1-line block ×6, first 2 shown]
	global_load_dwordx2 v[4:5], v0, s[12:13] offset:112
	v_lshlrev_b32_e32 v1, 3, v34
	v_lshlrev_b32_e32 v0, 4, v39
	v_lshlrev_b32_e32 v8, 4, v41
	v_add3_u32 v60, 0, v1, v37
	v_sub_u32_e32 v0, v2, v0
	v_sub_u32_e32 v1, v3, v8
	v_lshlrev_b32_e32 v9, 4, v38
	ds_read2_b64 v[66:69], v35 offset0:162 offset1:189
	ds_read2_b64 v[70:73], v35 offset0:216 offset1:243
	;; [unrolled: 1-line block ×4, first 2 shown]
	v_add_u32_e32 v59, v0, v37
	v_add_u32_e32 v58, v1, v37
	ds_read_b64 v[0:1], v60
	v_sub_u32_e32 v2, v10, v9
	v_add_u32_e32 v40, v2, v37
	ds_read_b64 v[2:3], v59
	ds_read_b64 v[8:9], v58
	;; [unrolled: 1-line block ×3, first 2 shown]
	v_lshlrev_b32_e32 v19, 3, v36
	v_mul_u32_u24_e32 v27, 48, v27
	v_or_b32_sdwa v27, v27, v82 dst_sel:DWORD dst_unused:UNUSED_PAD src0_sel:DWORD src1_sel:BYTE_0
	v_lshlrev_b32_e32 v27, 3, v27
	v_add3_u32 v27, 0, v27, v37
	s_waitcnt vmcnt(7) lgkmcnt(3)
	v_mul_f32_e32 v10, v12, v1
	v_mul_f32_e32 v12, v12, v0
	s_waitcnt lgkmcnt(2)
	v_mul_f32_e32 v61, v14, v3
	v_fma_f32 v10, v11, v0, -v10
	v_fmac_f32_e32 v12, v11, v1
	v_mul_f32_e32 v11, v14, v2
	v_fma_f32 v14, v13, v2, -v61
	ds_read_b64 v[0:1], v40
	v_add3_u32 v61, 0, v19, v37
	v_fmac_f32_e32 v11, v13, v3
	ds_read_b64 v[2:3], v61
	s_waitcnt vmcnt(6) lgkmcnt(3)
	v_mul_f32_e32 v13, v16, v9
	v_mul_f32_e32 v16, v16, v8
	s_waitcnt lgkmcnt(1)
	v_mul_f32_e32 v19, v1, v18
	v_fmac_f32_e32 v16, v15, v9
	v_mul_f32_e32 v9, v0, v18
	v_fma_f32 v8, v15, v8, -v13
	s_waitcnt vmcnt(5) lgkmcnt(0)
	v_mul_f32_e32 v13, v3, v22
	v_fma_f32 v15, v0, v17, -v19
	v_fmac_f32_e32 v9, v1, v17
	v_mul_f32_e32 v17, v2, v22
	v_mul_f32_e32 v0, v67, v24
	;; [unrolled: 1-line block ×3, first 2 shown]
	s_waitcnt vmcnt(4)
	v_mul_f32_e32 v1, v69, v45
	v_mul_f32_e32 v19, v68, v45
	;; [unrolled: 1-line block ×3, first 2 shown]
	v_fma_f32 v13, v2, v21, -v13
	v_fmac_f32_e32 v17, v3, v21
	v_mul_f32_e32 v21, v70, v47
	s_waitcnt vmcnt(3)
	v_mul_f32_e32 v2, v73, v49
	v_fma_f32 v24, v66, v23, -v0
	v_fmac_f32_e32 v18, v67, v23
	v_mul_f32_e32 v23, v72, v49
	v_mul_f32_e32 v0, v75, v51
	;; [unrolled: 1-line block ×3, first 2 shown]
	s_waitcnt vmcnt(2)
	v_mul_f32_e32 v3, v77, v53
	v_fma_f32 v47, v68, v44, -v1
	v_mul_f32_e32 v1, v79, v55
	v_fma_f32 v22, v70, v46, -v22
	v_fmac_f32_e32 v21, v71, v46
	v_fma_f32 v46, v72, v48, -v2
	v_fmac_f32_e32 v23, v73, v48
	;; [unrolled: 2-line block ×3, first 2 shown]
	v_fma_f32 v50, v76, v52, -v3
	v_fma_f32 v51, v78, v54, -v1
	ds_read2_b64 v[0:3], v20 offset0:122 offset1:149
	v_mul_f32_e32 v49, v78, v55
	v_fmac_f32_e32 v49, v79, v54
	v_fmac_f32_e32 v19, v69, v44
	v_mul_f32_e32 v44, v76, v53
	s_waitcnt vmcnt(1) lgkmcnt(0)
	v_mul_f32_e32 v54, v1, v65
	v_fma_f32 v54, v0, v64, -v54
	v_mul_f32_e32 v0, v0, v65
	v_fmac_f32_e32 v0, v1, v64
	s_waitcnt vmcnt(0)
	v_mul_f32_e32 v1, v3, v5
	v_fma_f32 v1, v2, v4, -v1
	v_mul_f32_e32 v2, v2, v5
	v_fmac_f32_e32 v2, v3, v4
	v_sub_f32_e32 v3, v25, v22
	v_mul_f32_e32 v53, v80, v63
	v_sub_f32_e32 v4, v26, v21
	v_fma_f32 v5, v25, 2.0, -v3
	v_sub_f32_e32 v25, v9, v49
	v_fmac_f32_e32 v44, v77, v52
	v_mul_f32_e32 v52, v81, v63
	v_fmac_f32_e32 v53, v81, v62
	v_fma_f32 v21, v26, 2.0, -v4
	v_sub_f32_e32 v22, v15, v51
	v_fma_f32 v9, v9, 2.0, -v25
	v_sub_f32_e32 v26, v14, v48
	v_sub_f32_e32 v0, v18, v0
	;; [unrolled: 1-line block ×3, first 2 shown]
	v_fma_f32 v52, v80, v62, -v52
	v_fma_f32 v15, v15, 2.0, -v22
	v_sub_f32_e32 v45, v11, v45
	v_sub_f32_e32 v48, v24, v54
	v_fma_f32 v18, v18, 2.0, -v0
	v_sub_f32_e32 v46, v10, v46
	v_sub_f32_e32 v51, v17, v53
	v_add_f32_e32 v22, v4, v22
	v_fma_f32 v3, v3, 2.0, -v25
	v_sub_f32_e32 v0, v26, v0
	v_fma_f32 v14, v14, 2.0, -v26
	v_fma_f32 v24, v24, 2.0, -v48
	v_sub_f32_e32 v23, v12, v23
	v_sub_f32_e32 v49, v13, v52
	v_fma_f32 v17, v17, 2.0, -v51
	v_sub_f32_e32 v50, v8, v50
	v_sub_f32_e32 v1, v47, v1
	;; [unrolled: 1-line block ×3, first 2 shown]
	v_fma_f32 v4, v4, 2.0, -v22
	v_add_f32_e32 v48, v45, v48
	v_fma_f32 v26, v26, 2.0, -v0
	v_sub_f32_e32 v51, v46, v51
	v_mov_b32_e32 v54, v3
	v_fma_f32 v11, v11, 2.0, -v45
	v_fma_f32 v10, v10, 2.0, -v46
	;; [unrolled: 1-line block ×3, first 2 shown]
	v_sub_f32_e32 v44, v16, v44
	v_fma_f32 v8, v8, 2.0, -v50
	v_fma_f32 v47, v47, 2.0, -v1
	;; [unrolled: 1-line block ×4, first 2 shown]
	v_add_f32_e32 v49, v23, v49
	v_fma_f32 v46, v46, 2.0, -v51
	v_sub_f32_e32 v2, v50, v2
	v_fmac_f32_e32 v54, 0xbf3504f3, v26
	v_mov_b32_e32 v55, v4
	v_mov_b32_e32 v64, v25
	v_fma_f32 v12, v12, 2.0, -v23
	v_fma_f32 v16, v16, 2.0, -v44
	v_sub_f32_e32 v9, v21, v9
	v_sub_f32_e32 v18, v11, v18
	;; [unrolled: 1-line block ×3, first 2 shown]
	v_fma_f32 v23, v23, 2.0, -v49
	v_sub_f32_e32 v47, v8, v47
	v_add_f32_e32 v1, v44, v1
	v_fma_f32 v50, v50, 2.0, -v2
	v_fmac_f32_e32 v55, 0xbf3504f3, v45
	v_fmac_f32_e32 v54, 0xbf3504f3, v45
	;; [unrolled: 1-line block ×3, first 2 shown]
	v_mov_b32_e32 v65, v22
	v_mov_b32_e32 v45, v46
	v_sub_f32_e32 v15, v5, v15
	v_fma_f32 v21, v21, 2.0, -v9
	v_sub_f32_e32 v24, v14, v24
	v_fma_f32 v11, v11, 2.0, -v18
	;; [unrolled: 2-line block ×4, first 2 shown]
	v_fma_f32 v44, v44, 2.0, -v1
	v_fmac_f32_e32 v65, 0x3f3504f3, v48
	v_fmac_f32_e32 v64, 0xbf3504f3, v48
	;; [unrolled: 1-line block ×3, first 2 shown]
	v_mov_b32_e32 v48, v23
	v_fma_f32 v5, v5, 2.0, -v15
	v_fma_f32 v14, v14, 2.0, -v24
	;; [unrolled: 1-line block ×4, first 2 shown]
	v_sub_f32_e32 v53, v21, v11
	v_fmac_f32_e32 v55, 0x3f3504f3, v26
	v_fma_f32 v3, v3, 2.0, -v54
	v_add_f32_e32 v63, v9, v24
	v_sub_f32_e32 v24, v10, v8
	v_fmac_f32_e32 v48, 0xbf3504f3, v44
	v_fmac_f32_e32 v45, 0xbf3504f3, v44
	v_sub_f32_e32 v52, v5, v14
	v_fma_f32 v11, v21, 2.0, -v53
	v_fma_f32 v14, v4, 2.0, -v55
	v_sub_f32_e32 v62, v15, v18
	v_fma_f32 v18, v9, 2.0, -v63
	v_fmac_f32_e32 v65, 0x3f3504f3, v0
	v_fma_f32 v21, v25, 2.0, -v64
	v_sub_f32_e32 v25, v12, v16
	v_fma_f32 v0, v10, 2.0, -v24
	v_fmac_f32_e32 v48, 0x3f3504f3, v50
	v_fma_f32 v10, v46, 2.0, -v45
	v_sub_f32_e32 v50, v13, v19
	v_add_f32_e32 v66, v17, v47
	v_mov_b32_e32 v67, v51
	v_mov_b32_e32 v8, v3
	v_fma_f32 v15, v15, 2.0, -v62
	v_fma_f32 v4, v12, 2.0, -v25
	;; [unrolled: 1-line block ×5, first 2 shown]
	v_fmac_f32_e32 v67, 0x3f3504f3, v2
	v_mov_b32_e32 v68, v49
	v_fmac_f32_e32 v8, 0xbf6c835e, v10
	v_mov_b32_e32 v9, v14
	v_mov_b32_e32 v13, v18
	v_fmac_f32_e32 v68, 0x3f3504f3, v1
	v_fmac_f32_e32 v67, 0xbf3504f3, v1
	;; [unrolled: 1-line block ×4, first 2 shown]
	v_mov_b32_e32 v12, v15
	v_fmac_f32_e32 v13, 0xbf3504f3, v17
	v_fma_f32 v22, v22, 2.0, -v65
	v_fmac_f32_e32 v68, 0x3f3504f3, v2
	v_fma_f32 v2, v51, 2.0, -v67
	v_fmac_f32_e32 v12, 0xbf3504f3, v16
	v_fmac_f32_e32 v13, 0x3f3504f3, v16
	v_mov_b32_e32 v16, v21
	v_fma_f32 v5, v5, 2.0, -v52
	v_fma_f32 v19, v49, 2.0, -v68
	v_fmac_f32_e32 v12, 0xbf3504f3, v17
	v_fmac_f32_e32 v16, 0xbec3ef15, v2
	v_mov_b32_e32 v17, v22
	v_sub_f32_e32 v0, v5, v0
	v_sub_f32_e32 v1, v11, v4
	v_fmac_f32_e32 v9, 0x3ec3ef15, v10
	v_fmac_f32_e32 v17, 0xbec3ef15, v19
	;; [unrolled: 1-line block ×3, first 2 shown]
	v_fma_f32 v4, v5, 2.0, -v0
	v_fma_f32 v5, v11, 2.0, -v1
	;; [unrolled: 1-line block ×6, first 2 shown]
	v_fmac_f32_e32 v17, 0x3f6c835e, v2
	v_fma_f32 v18, v21, 2.0, -v16
	v_sub_f32_e32 v21, v52, v25
	v_mov_b32_e32 v25, v54
	v_mov_b32_e32 v26, v55
	;; [unrolled: 1-line block ×6, first 2 shown]
	v_fmac_f32_e32 v25, 0x3ec3ef15, v45
	v_fmac_f32_e32 v26, 0x3ec3ef15, v48
	;; [unrolled: 1-line block ×6, first 2 shown]
	v_fma_f32 v19, v22, 2.0, -v17
	v_add_f32_e32 v22, v53, v24
	v_fmac_f32_e32 v25, 0xbf6c835e, v48
	v_fmac_f32_e32 v26, 0x3f6c835e, v45
	;; [unrolled: 1-line block ×6, first 2 shown]
	v_fma_f32 v23, v52, 2.0, -v21
	v_fma_f32 v24, v53, 2.0, -v22
	;; [unrolled: 1-line block ×8, first 2 shown]
	s_waitcnt lgkmcnt(0)
	; wave barrier
	ds_write2_b64 v27, v[4:5], v[10:11] offset1:3
	ds_write2_b64 v27, v[14:15], v[18:19] offset0:6 offset1:9
	ds_write2_b64 v27, v[23:24], v[44:45] offset0:12 offset1:15
	;; [unrolled: 1-line block ×7, first 2 shown]
	v_add_u32_e32 v0, 0x400, v35
	s_waitcnt lgkmcnt(0)
	; wave barrier
	s_waitcnt lgkmcnt(0)
	ds_read2_b64 v[8:11], v35 offset0:144 offset1:171
	ds_read2_b64 v[24:27], v0 offset0:124 offset1:160
	ds_read2_b64 v[12:15], v20 offset0:59 offset1:86
	ds_read2_b64 v[16:19], v35 offset0:198 offset1:225
	ds_read_b64 v[54:55], v57
	ds_read_b64 v[52:53], v60
	;; [unrolled: 1-line block ×4, first 2 shown]
	ds_read2_b64 v[20:23], v20 offset0:113 offset1:140
	ds_read_b64 v[46:47], v40
	s_and_saveexec_b64 s[2:3], s[0:1]
	s_cbranch_execz .LBB0_17
; %bb.16:
	v_add_u32_e32 v0, 0x800, v35
	ds_read2_b64 v[4:7], v0 offset0:23 offset1:167
	ds_read_b64 v[2:3], v61
	s_waitcnt lgkmcnt(1)
	v_mov_b32_e32 v43, v5
	v_mov_b32_e32 v42, v4
.LBB0_17:
	s_or_b64 exec, exec, s[2:3]
	v_lshlrev_b32_e32 v0, 1, v30
	v_mov_b32_e32 v1, 0
	v_lshlrev_b64 v[4:5], 3, v[0:1]
	v_mov_b32_e32 v74, s13
	v_add_co_u32_e64 v44, s[2:3], s12, v4
	v_mul_lo_u16_sdwa v4, v38, s6 dst_sel:DWORD dst_unused:UNUSED_PAD src0_sel:BYTE_0 src1_sel:DWORD
	v_lshrrev_b16_e32 v4, 13, v4
	v_mul_lo_u16_e32 v4, 48, v4
	v_addc_co_u32_e64 v45, s[2:3], v74, v5, s[2:3]
	v_sub_u16_e32 v75, v38, v4
	v_mov_b32_e32 v76, 4
	global_load_dwordx4 v[62:65], v[44:45], off offset:360
	v_lshlrev_b32_sdwa v4, v76, v75 dst_sel:DWORD dst_unused:UNUSED_PAD src0_sel:DWORD src1_sel:BYTE_0
	global_load_dwordx4 v[66:69], v4, s[12:13] offset:360
	v_subrev_u32_e32 v5, 21, v30
	v_cmp_gt_u32_e64 s[2:3], 21, v30
	v_mul_lo_u16_sdwa v4, v41, s6 dst_sel:DWORD dst_unused:UNUSED_PAD src0_sel:BYTE_0 src1_sel:DWORD
	v_mul_lo_u16_sdwa v70, v36, s6 dst_sel:DWORD dst_unused:UNUSED_PAD src0_sel:BYTE_0 src1_sel:DWORD
	v_cndmask_b32_e64 v78, v5, v34, s[2:3]
	v_lshrrev_b16_e32 v77, 13, v4
	v_mov_b32_e32 v5, v1
	v_lshrrev_b16_e32 v70, 13, v70
	v_lshlrev_b32_e32 v4, 1, v78
	v_mul_lo_u16_e32 v72, 48, v70
	v_lshlrev_b64 v[70:71], 3, v[4:5]
	v_sub_u16_e32 v4, v36, v72
	v_add_co_u32_e64 v70, s[2:3], s12, v70
	v_lshlrev_b32_sdwa v5, v76, v4 dst_sel:DWORD dst_unused:UNUSED_PAD src0_sel:DWORD src1_sel:BYTE_0
	v_addc_co_u32_e64 v71, s[2:3], v74, v71, s[2:3]
	global_load_dwordx4 v[70:73], v[70:71], off offset:360
	v_add_u32_e32 v0, 12, v0
	v_lshlrev_b64 v[0:1], 3, v[0:1]
	s_movk_i32 s6, 0x480
	v_add_co_u32_e64 v0, s[2:3], s12, v0
	v_addc_co_u32_e64 v1, s[2:3], v74, v1, s[2:3]
	v_cmp_lt_u32_e64 s[2:3], 20, v30
	s_waitcnt vmcnt(2) lgkmcnt(9)
	v_mul_f32_e32 v79, v63, v9
	v_mul_f32_e32 v80, v63, v8
	s_waitcnt lgkmcnt(8)
	v_mul_f32_e32 v63, v65, v27
	v_mul_f32_e32 v81, v65, v26
	v_fma_f32 v8, v62, v8, -v79
	v_fmac_f32_e32 v80, v62, v9
	v_fma_f32 v9, v64, v26, -v63
	v_fmac_f32_e32 v81, v64, v27
	global_load_dwordx4 v[62:65], v5, s[12:13] offset:360
	s_waitcnt vmcnt(2)
	v_mul_f32_e32 v5, v25, v67
	v_fma_f32 v27, v24, v66, -v5
	v_mul_lo_u16_e32 v5, 48, v77
	v_sub_u16_e32 v79, v41, v5
	v_mul_f32_e32 v26, v24, v67
	v_lshlrev_b32_sdwa v5, v76, v79 dst_sel:DWORD dst_unused:UNUSED_PAD src0_sel:DWORD src1_sel:BYTE_0
	s_waitcnt lgkmcnt(1)
	v_mul_f32_e32 v24, v23, v69
	v_mul_f32_e32 v76, v22, v69
	v_fmac_f32_e32 v26, v25, v66
	v_fma_f32 v82, v22, v68, -v24
	v_fmac_f32_e32 v76, v23, v68
	global_load_dwordx4 v[22:25], v5, s[12:13] offset:360
	global_load_dwordx4 v[66:69], v[0:1], off offset:360
	s_waitcnt lgkmcnt(0)
	; wave barrier
	s_waitcnt vmcnt(2) lgkmcnt(0)
	v_mul_f32_e32 v5, v7, v65
	v_mul_f32_e32 v65, v6, v65
	v_fmac_f32_e32 v65, v7, v64
	v_sub_f32_e32 v7, v80, v81
	s_waitcnt vmcnt(1)
	v_mul_f32_e32 v0, v21, v25
	v_fma_f32 v74, v20, v24, -v0
	v_mul_f32_e32 v20, v20, v25
	v_fmac_f32_e32 v20, v21, v24
	v_mul_f32_e32 v0, v23, v19
	v_mul_f32_e32 v21, v23, v18
	s_waitcnt vmcnt(0)
	v_mul_f32_e32 v1, v67, v17
	v_fma_f32 v18, v22, v18, -v0
	v_fmac_f32_e32 v21, v22, v19
	v_mul_f32_e32 v0, v69, v15
	v_mul_f32_e32 v22, v69, v14
	;; [unrolled: 1-line block ×3, first 2 shown]
	v_fma_f32 v16, v66, v16, -v1
	v_fma_f32 v14, v68, v14, -v0
	v_fmac_f32_e32 v22, v68, v15
	v_mul_f32_e32 v0, v71, v11
	v_mul_f32_e32 v15, v71, v10
	;; [unrolled: 1-line block ×3, first 2 shown]
	v_fma_f32 v23, v6, v64, -v5
	v_fma_f32 v10, v70, v10, -v0
	v_fmac_f32_e32 v15, v70, v11
	v_fma_f32 v11, v72, v12, -v1
	v_mul_f32_e32 v0, v43, v63
	v_add_f32_e32 v1, v8, v9
	v_add_f32_e32 v5, v80, v81
	v_fma_f32 v64, v42, v62, -v0
	v_add_f32_e32 v0, v54, v8
	v_fma_f32 v54, -0.5, v1, v54
	v_add_f32_e32 v1, v55, v80
	v_fmac_f32_e32 v55, -0.5, v5
	v_sub_f32_e32 v8, v8, v9
	v_mov_b32_e32 v5, v54
	v_mov_b32_e32 v6, v55
	v_add_f32_e32 v0, v0, v9
	v_add_f32_e32 v1, v1, v81
	v_fmac_f32_e32 v5, 0x3f5db3d7, v7
	v_fmac_f32_e32 v6, 0xbf5db3d7, v8
	;; [unrolled: 1-line block ×3, first 2 shown]
	v_mul_f32_e32 v17, v73, v12
	ds_write2_b64 v35, v[0:1], v[5:6] offset1:48
	v_add_f32_e32 v0, v52, v10
	v_fmac_f32_e32 v17, v72, v13
	v_fmac_f32_e32 v54, 0xbf5db3d7, v7
	v_add_f32_e32 v7, v0, v11
	v_add_f32_e32 v0, v53, v15
	v_fmac_f32_e32 v55, 0x3f5db3d7, v8
	v_add_f32_e32 v8, v0, v17
	v_add_f32_e32 v0, v15, v17
	v_fmac_f32_e32 v53, -0.5, v0
	v_sub_f32_e32 v0, v10, v11
	v_mov_b32_e32 v6, v53
	v_fmac_f32_e32 v6, 0xbf5db3d7, v0
	v_fmac_f32_e32 v53, 0x3f5db3d7, v0
	v_add_f32_e32 v0, v50, v16
	v_add_f32_e32 v1, v10, v11
	v_add_f32_e32 v11, v0, v14
	v_add_f32_e32 v0, v51, v19
	v_add_f32_e32 v12, v0, v22
	v_add_f32_e32 v0, v19, v22
	v_fma_f32 v52, -0.5, v1, v52
	v_fmac_f32_e32 v51, -0.5, v0
	v_sub_f32_e32 v1, v15, v17
	v_mov_b32_e32 v5, v52
	v_sub_f32_e32 v0, v16, v14
	v_mov_b32_e32 v10, v51
	v_fmac_f32_e32 v5, 0x3f5db3d7, v1
	v_fmac_f32_e32 v52, 0xbf5db3d7, v1
	v_add_f32_e32 v1, v16, v14
	v_fmac_f32_e32 v10, 0xbf5db3d7, v0
	v_fmac_f32_e32 v51, 0x3f5db3d7, v0
	v_add_f32_e32 v0, v48, v18
	v_fma_f32 v50, -0.5, v1, v50
	v_add_f32_e32 v15, v0, v74
	v_add_f32_e32 v0, v49, v21
	v_sub_f32_e32 v1, v19, v22
	v_mov_b32_e32 v9, v50
	v_add_f32_e32 v16, v0, v20
	v_add_f32_e32 v0, v21, v20
	v_fmac_f32_e32 v9, 0x3f5db3d7, v1
	v_fmac_f32_e32 v50, 0xbf5db3d7, v1
	v_add_f32_e32 v1, v18, v74
	v_fmac_f32_e32 v49, -0.5, v0
	v_fma_f32 v48, -0.5, v1, v48
	v_sub_f32_e32 v0, v18, v74
	v_mov_b32_e32 v14, v49
	v_sub_f32_e32 v1, v21, v20
	v_mov_b32_e32 v13, v48
	v_fmac_f32_e32 v14, 0xbf5db3d7, v0
	v_fmac_f32_e32 v49, 0x3f5db3d7, v0
	v_add_f32_e32 v0, v46, v27
	v_fmac_f32_e32 v13, 0x3f5db3d7, v1
	v_fmac_f32_e32 v48, 0xbf5db3d7, v1
	v_add_f32_e32 v1, v27, v82
	v_add_f32_e32 v19, v0, v82
	;; [unrolled: 1-line block ×3, first 2 shown]
	v_fma_f32 v46, -0.5, v1, v46
	v_add_f32_e32 v20, v0, v76
	v_add_f32_e32 v0, v26, v76
	v_mul_f32_e32 v42, v42, v63
	v_sub_f32_e32 v1, v26, v76
	v_mov_b32_e32 v17, v46
	v_fmac_f32_e32 v47, -0.5, v0
	v_fmac_f32_e32 v42, v43, v62
	v_fmac_f32_e32 v17, 0x3f5db3d7, v1
	;; [unrolled: 1-line block ×3, first 2 shown]
	v_sub_f32_e32 v0, v27, v82
	v_mov_b32_e32 v18, v47
	v_add_f32_e32 v1, v2, v64
	v_fmac_f32_e32 v18, 0xbf5db3d7, v0
	v_fmac_f32_e32 v47, 0x3f5db3d7, v0
	v_add_f32_e32 v0, v64, v23
	v_add_f32_e32 v24, v1, v23
	;; [unrolled: 1-line block ×3, first 2 shown]
	v_fmac_f32_e32 v2, -0.5, v0
	v_add_f32_e32 v25, v1, v65
	v_add_f32_e32 v1, v42, v65
	v_mov_b32_e32 v0, v2
	v_sub_f32_e32 v21, v42, v65
	v_fmac_f32_e32 v3, -0.5, v1
	v_fmac_f32_e32 v0, 0x3f5db3d7, v21
	v_fmac_f32_e32 v2, 0xbf5db3d7, v21
	v_sub_f32_e32 v21, v64, v23
	v_mov_b32_e32 v1, v3
	v_fmac_f32_e32 v1, 0xbf5db3d7, v21
	v_fmac_f32_e32 v3, 0x3f5db3d7, v21
	v_mov_b32_e32 v21, 0x480
	v_cndmask_b32_e64 v21, 0, v21, s[2:3]
	v_add_u32_e32 v21, 0, v21
	v_lshlrev_b32_e32 v22, 3, v78
	v_add3_u32 v21, v21, v22, v37
	ds_write_b64 v35, v[54:55] offset:768
	ds_write2_b64 v21, v[7:8], v[5:6] offset1:48
	ds_write_b64 v21, v[52:53] offset:768
	ds_write2_b64 v35, v[11:12], v[9:10] offset0:150 offset1:198
	ds_write_b64 v35, v[50:51] offset:1968
	v_mov_b32_e32 v5, 3
	v_mad_u32_u24 v6, v77, s6, 0
	v_lshlrev_b32_sdwa v7, v5, v79 dst_sel:DWORD dst_unused:UNUSED_PAD src0_sel:DWORD src1_sel:BYTE_0
	v_add3_u32 v6, v6, v7, v37
	ds_write2_b64 v6, v[15:16], v[13:14] offset1:48
	ds_write_b64 v6, v[48:49] offset:768
	v_lshlrev_b32_sdwa v6, v5, v75 dst_sel:DWORD dst_unused:UNUSED_PAD src0_sel:DWORD src1_sel:BYTE_0
	v_add3_u32 v6, 0, v6, v37
	v_add_u32_e32 v7, 0x800, v6
	ds_write2_b64 v7, v[19:20], v[17:18] offset0:32 offset1:80
	ds_write_b64 v6, v[46:47] offset:3072
	s_and_saveexec_b64 s[2:3], s[0:1]
	s_cbranch_execz .LBB0_19
; %bb.18:
	v_lshlrev_b32_sdwa v4, v5, v4 dst_sel:DWORD dst_unused:UNUSED_PAD src0_sel:DWORD src1_sel:BYTE_0
	v_add3_u32 v4, 0, v4, v37
	v_add_u32_e32 v5, 0x800, v4
	ds_write2_b64 v5, v[24:25], v[0:1] offset0:32 offset1:80
	ds_write_b64 v4, v[2:3] offset:3072
.LBB0_19:
	s_or_b64 exec, exec, s[2:3]
	v_add_u32_e32 v4, 0x400, v35
	v_add_u32_e32 v8, 0x800, v35
	s_waitcnt lgkmcnt(0)
	; wave barrier
	s_waitcnt lgkmcnt(0)
	ds_read2_b64 v[20:23], v35 offset0:144 offset1:171
	ds_read2_b64 v[4:7], v4 offset0:124 offset1:160
	;; [unrolled: 1-line block ×4, first 2 shown]
	ds_read_b64 v[50:51], v57
	ds_read_b64 v[48:49], v60
	;; [unrolled: 1-line block ×4, first 2 shown]
	ds_read2_b64 v[8:11], v8 offset0:113 offset1:140
	ds_read_b64 v[26:27], v40
	s_and_saveexec_b64 s[2:3], s[0:1]
	s_cbranch_execz .LBB0_21
; %bb.20:
	v_add_u32_e32 v0, 0x800, v35
	ds_read_b64 v[24:25], v61
	ds_read2_b64 v[0:3], v0 offset0:23 offset1:167
.LBB0_21:
	s_or_b64 exec, exec, s[2:3]
	global_load_dwordx4 v[52:55], v[44:45], off offset:1128
	v_lshlrev_b32_e32 v44, 1, v34
	v_mov_b32_e32 v45, 0
	v_lshlrev_b64 v[61:62], 3, v[44:45]
	v_lshlrev_b32_e32 v44, 1, v39
	v_mov_b32_e32 v37, s13
	v_add_co_u32_e64 v61, s[2:3], s12, v61
	v_lshlrev_b64 v[65:66], 3, v[44:45]
	v_addc_co_u32_e64 v62, s[2:3], v37, v62, s[2:3]
	v_lshlrev_b32_e32 v44, 1, v41
	v_add_co_u32_e64 v65, s[2:3], s12, v65
	v_lshlrev_b64 v[69:70], 3, v[44:45]
	v_addc_co_u32_e64 v66, s[2:3], v37, v66, s[2:3]
	v_lshlrev_b32_e32 v44, 1, v38
	v_add_co_u32_e64 v69, s[2:3], s12, v69
	v_lshlrev_b64 v[73:74], 3, v[44:45]
	v_addc_co_u32_e64 v70, s[2:3], v37, v70, s[2:3]
	global_load_dwordx4 v[61:64], v[61:62], off offset:1128
	v_add_co_u32_e64 v73, s[2:3], s12, v73
	global_load_dwordx4 v[65:68], v[65:66], off offset:1128
	v_addc_co_u32_e64 v74, s[2:3], v37, v74, s[2:3]
	global_load_dwordx4 v[69:72], v[69:70], off offset:1128
	s_waitcnt vmcnt(3) lgkmcnt(9)
	v_mul_f32_e32 v37, v53, v21
	global_load_dwordx4 v[73:76], v[73:74], off offset:1128
	v_mul_f32_e32 v44, v53, v20
	s_waitcnt lgkmcnt(8)
	v_mul_f32_e32 v53, v55, v7
	v_mul_f32_e32 v55, v55, v6
	v_fma_f32 v20, v52, v20, -v37
	v_fma_f32 v6, v54, v6, -v53
	v_fmac_f32_e32 v44, v52, v21
	v_fmac_f32_e32 v55, v54, v7
	v_add_f32_e32 v21, v20, v6
	s_waitcnt lgkmcnt(5)
	v_add_f32_e32 v7, v50, v20
	v_sub_f32_e32 v37, v44, v55
	v_add_f32_e32 v52, v51, v44
	v_add_f32_e32 v44, v44, v55
	v_fma_f32 v50, -0.5, v21, v50
	v_sub_f32_e32 v53, v20, v6
	v_add_f32_e32 v6, v7, v6
	v_add_f32_e32 v7, v52, v55
	v_fmac_f32_e32 v51, -0.5, v44
	v_mov_b32_e32 v20, v50
	v_fmac_f32_e32 v50, 0xbf5db3d7, v37
	v_fmac_f32_e32 v20, 0x3f5db3d7, v37
	v_mov_b32_e32 v21, v51
	s_waitcnt vmcnt(3)
	v_mul_f32_e32 v44, v62, v23
	v_mul_f32_e32 v52, v62, v22
	v_mul_f32_e32 v54, v64, v17
	v_mul_f32_e32 v55, v64, v16
	v_fma_f32 v22, v61, v22, -v44
	v_fmac_f32_e32 v52, v61, v23
	v_fma_f32 v16, v63, v16, -v54
	s_waitcnt vmcnt(2)
	v_mul_f32_e32 v23, v66, v12
	v_mul_f32_e32 v44, v68, v19
	;; [unrolled: 1-line block ×3, first 2 shown]
	s_waitcnt vmcnt(1) lgkmcnt(1)
	v_mul_f32_e32 v37, v8, v72
	v_fmac_f32_e32 v55, v63, v17
	v_mul_f32_e32 v17, v66, v13
	v_fmac_f32_e32 v23, v65, v13
	v_fma_f32 v13, v67, v18, -v44
	v_fmac_f32_e32 v54, v67, v19
	v_mul_f32_e32 v19, v9, v72
	v_add_f32_e32 v44, v48, v22
	v_fmac_f32_e32 v37, v9, v71
	v_fma_f32 v19, v8, v71, -v19
	v_add_f32_e32 v8, v44, v16
	v_fma_f32 v17, v65, v12, -v17
	v_mul_f32_e32 v12, v70, v15
	v_fmac_f32_e32 v51, 0x3f5db3d7, v53
	v_fmac_f32_e32 v21, 0xbf5db3d7, v53
	v_fma_f32 v53, v69, v14, -v12
	v_mul_f32_e32 v18, v70, v14
	v_add_f32_e32 v14, v23, v54
	v_fmac_f32_e32 v18, v69, v15
	v_add_f32_e32 v15, v53, v19
	s_waitcnt lgkmcnt(0)
	; wave barrier
	s_waitcnt vmcnt(0) lgkmcnt(0)
	v_mul_f32_e32 v9, v5, v74
	v_mul_f32_e32 v61, v4, v74
	v_fma_f32 v44, v4, v73, -v9
	v_add_f32_e32 v4, v22, v16
	v_fma_f32 v48, -0.5, v4, v48
	v_fmac_f32_e32 v61, v5, v73
	v_sub_f32_e32 v5, v52, v55
	v_mov_b32_e32 v4, v48
	v_fmac_f32_e32 v4, 0x3f5db3d7, v5
	v_fmac_f32_e32 v48, 0xbf5db3d7, v5
	v_add_f32_e32 v5, v49, v52
	v_add_f32_e32 v9, v5, v55
	;; [unrolled: 1-line block ×3, first 2 shown]
	v_mul_f32_e32 v12, v11, v76
	v_mul_f32_e32 v62, v10, v76
	v_fmac_f32_e32 v49, -0.5, v5
	v_fma_f32 v63, v10, v75, -v12
	v_fmac_f32_e32 v62, v11, v75
	v_sub_f32_e32 v10, v22, v16
	v_mov_b32_e32 v5, v49
	v_add_f32_e32 v11, v17, v13
	v_fmac_f32_e32 v5, 0xbf5db3d7, v10
	v_fmac_f32_e32 v49, 0x3f5db3d7, v10
	v_add_f32_e32 v10, v46, v17
	v_fma_f32 v46, -0.5, v11, v46
	v_sub_f32_e32 v11, v23, v54
	v_mov_b32_e32 v12, v46
	v_fmac_f32_e32 v12, 0x3f5db3d7, v11
	v_fmac_f32_e32 v46, 0xbf5db3d7, v11
	v_add_f32_e32 v11, v47, v23
	v_fmac_f32_e32 v47, -0.5, v14
	v_add_f32_e32 v10, v10, v13
	v_sub_f32_e32 v14, v17, v13
	v_mov_b32_e32 v13, v47
	v_fmac_f32_e32 v13, 0xbf5db3d7, v14
	v_fmac_f32_e32 v47, 0x3f5db3d7, v14
	v_add_f32_e32 v14, v42, v53
	v_fma_f32 v42, -0.5, v15, v42
	v_sub_f32_e32 v15, v18, v37
	v_mov_b32_e32 v16, v42
	v_add_f32_e32 v17, v18, v37
	v_fmac_f32_e32 v16, 0x3f5db3d7, v15
	v_fmac_f32_e32 v42, 0xbf5db3d7, v15
	v_add_f32_e32 v15, v43, v18
	v_fmac_f32_e32 v43, -0.5, v17
	v_add_f32_e32 v14, v14, v19
	v_sub_f32_e32 v18, v53, v19
	v_mov_b32_e32 v17, v43
	v_add_f32_e32 v19, v44, v63
	v_fmac_f32_e32 v17, 0xbf5db3d7, v18
	v_fmac_f32_e32 v43, 0x3f5db3d7, v18
	v_add_f32_e32 v18, v26, v44
	v_fma_f32 v26, -0.5, v19, v26
	v_sub_f32_e32 v19, v61, v62
	v_mov_b32_e32 v22, v26
	v_add_f32_e32 v23, v61, v62
	v_fmac_f32_e32 v22, 0x3f5db3d7, v19
	v_fmac_f32_e32 v26, 0xbf5db3d7, v19
	v_add_f32_e32 v19, v27, v61
	v_fmac_f32_e32 v27, -0.5, v23
	v_add_f32_e32 v15, v15, v37
	v_sub_f32_e32 v37, v44, v63
	v_mov_b32_e32 v23, v27
	v_add_f32_e32 v11, v11, v54
	v_add_f32_e32 v18, v18, v63
	;; [unrolled: 1-line block ×3, first 2 shown]
	v_fmac_f32_e32 v23, 0xbf5db3d7, v37
	v_fmac_f32_e32 v27, 0x3f5db3d7, v37
	ds_write2_b64 v35, v[6:7], v[20:21] offset1:144
	ds_write_b64 v35, v[50:51] offset:2304
	ds_write2_b64 v60, v[8:9], v[4:5] offset1:144
	ds_write_b64 v60, v[48:49] offset:2304
	;; [unrolled: 2-line block ×5, first 2 shown]
	s_and_saveexec_b64 s[2:3], s[0:1]
	s_cbranch_execz .LBB0_23
; %bb.22:
	v_add_u32_e32 v4, -9, v30
	v_cndmask_b32_e64 v4, v4, v36, s[0:1]
	v_lshlrev_b32_e32 v44, 1, v4
	v_lshlrev_b64 v[4:5], 3, v[44:45]
	v_mov_b32_e32 v6, s13
	v_add_co_u32_e64 v4, s[0:1], s12, v4
	v_addc_co_u32_e64 v5, s[0:1], v6, v5, s[0:1]
	global_load_dwordx4 v[4:7], v[4:5], off offset:1128
	v_add_u32_e32 v8, 0x400, v35
	s_waitcnt vmcnt(0)
	v_mul_f32_e32 v9, v1, v5
	v_mul_f32_e32 v10, v3, v7
	;; [unrolled: 1-line block ×4, first 2 shown]
	v_fma_f32 v0, v0, v4, -v9
	v_fma_f32 v2, v2, v6, -v10
	v_fmac_f32_e32 v5, v1, v4
	v_fmac_f32_e32 v7, v3, v6
	v_add_f32_e32 v1, v5, v7
	v_add_f32_e32 v4, v0, v2
	v_sub_f32_e32 v6, v0, v2
	v_add_f32_e32 v3, v25, v5
	v_sub_f32_e32 v9, v5, v7
	v_add_f32_e32 v5, v24, v0
	v_fma_f32 v1, -0.5, v1, v25
	v_fma_f32 v0, -0.5, v4, v24
	v_add_f32_e32 v3, v3, v7
	v_add_f32_e32 v2, v5, v2
	v_mov_b32_e32 v5, v1
	v_fmac_f32_e32 v1, 0xbf5db3d7, v6
	v_mov_b32_e32 v4, v0
	v_fmac_f32_e32 v0, 0x3f5db3d7, v9
	v_fmac_f32_e32 v5, 0x3f5db3d7, v6
	;; [unrolled: 1-line block ×3, first 2 shown]
	ds_write2_b64 v8, v[2:3], v[0:1] offset0:7 offset1:151
	ds_write_b64 v35, v[4:5] offset:3384
.LBB0_23:
	s_or_b64 exec, exec, s[2:3]
	s_waitcnt lgkmcnt(0)
	; wave barrier
	s_waitcnt lgkmcnt(0)
	ds_read_b64 v[4:5], v57
	v_sub_u32_e32 v6, v56, v31
	v_cmp_ne_u32_e64 s[0:1], 0, v30
                                        ; implicit-def: $vgpr2
                                        ; implicit-def: $vgpr7
                                        ; implicit-def: $vgpr8
                                        ; implicit-def: $vgpr0_vgpr1
	s_and_saveexec_b64 s[2:3], s[0:1]
	s_xor_b64 s[2:3], exec, s[2:3]
	s_cbranch_execz .LBB0_25
; %bb.24:
	v_mov_b32_e32 v31, 0
	v_lshlrev_b64 v[0:1], 3, v[30:31]
	v_mov_b32_e32 v2, s13
	v_add_co_u32_e64 v0, s[0:1], s12, v0
	v_addc_co_u32_e64 v1, s[0:1], v2, v1, s[0:1]
	global_load_dwordx2 v[0:1], v[0:1], off offset:3432
	ds_read_b64 v[2:3], v6 offset:3456
	s_waitcnt lgkmcnt(0)
	v_add_f32_e32 v9, v2, v4
	v_sub_f32_e32 v2, v4, v2
	v_add_f32_e32 v7, v3, v5
	v_sub_f32_e32 v3, v5, v3
	v_mul_f32_e32 v2, 0.5, v2
	v_mul_f32_e32 v4, 0.5, v7
	;; [unrolled: 1-line block ×3, first 2 shown]
	s_waitcnt vmcnt(0)
	v_mul_f32_e32 v5, v1, v2
	v_fma_f32 v8, v4, v1, v3
	v_fma_f32 v1, v4, v1, -v3
	v_fma_f32 v7, 0.5, v9, v5
	v_fma_f32 v5, v9, 0.5, -v5
	v_fma_f32 v8, -v0, v2, v8
	v_fma_f32 v3, -v0, v2, v1
	v_fmac_f32_e32 v7, v0, v4
	v_fma_f32 v2, -v0, v4, v5
	v_mov_b32_e32 v0, v30
	v_mov_b32_e32 v1, v31
                                        ; implicit-def: $vgpr4_vgpr5
.LBB0_25:
	s_andn2_saveexec_b64 s[0:1], s[2:3]
	s_cbranch_execz .LBB0_27
; %bb.26:
	ds_read_b32 v3, v56 offset:1732
	v_mov_b32_e32 v0, 0
	s_waitcnt lgkmcnt(1)
	v_add_f32_e32 v7, v4, v5
	v_sub_f32_e32 v2, v4, v5
	v_mov_b32_e32 v1, 0
	s_waitcnt lgkmcnt(0)
	v_xor_b32_e32 v3, 0x80000000, v3
	v_mov_b32_e32 v8, 0
	ds_write_b32 v56, v3 offset:1732
	v_mov_b32_e32 v3, 0
.LBB0_27:
	s_or_b64 exec, exec, s[0:1]
	v_mov_b32_e32 v35, 0
	s_waitcnt lgkmcnt(0)
	v_lshlrev_b64 v[4:5], 3, v[34:35]
	v_mov_b32_e32 v9, s13
	v_add_co_u32_e64 v4, s[0:1], s12, v4
	v_addc_co_u32_e64 v5, s[0:1], v9, v5, s[0:1]
	global_load_dwordx2 v[4:5], v[4:5], off offset:3432
	v_mov_b32_e32 v40, v35
	v_lshlrev_b64 v[9:10], 3, v[39:40]
	v_mov_b32_e32 v11, s13
	v_add_co_u32_e64 v9, s[0:1], s12, v9
	v_addc_co_u32_e64 v10, s[0:1], v11, v10, s[0:1]
	global_load_dwordx2 v[9:10], v[9:10], off offset:3432
	v_mov_b32_e32 v42, v35
	v_lshlrev_b64 v[11:12], 3, v[41:42]
	v_mov_b32_e32 v13, s13
	v_add_co_u32_e64 v11, s[0:1], s12, v11
	v_addc_co_u32_e64 v12, s[0:1], v13, v12, s[0:1]
	global_load_dwordx2 v[11:12], v[11:12], off offset:3432
	v_lshl_add_u32 v18, v39, 3, v56
	v_mov_b32_e32 v39, v35
	s_add_u32 s2, s12, 0xd68
	v_lshlrev_b64 v[13:14], 3, v[38:39]
	s_addc_u32 s0, s13, 0
	v_mov_b32_e32 v20, s13
	v_mov_b32_e32 v22, s0
	v_add_co_u32_e64 v13, s[0:1], s12, v13
	ds_write2_b32 v57, v7, v8 offset1:1
	ds_write_b64 v6, v[2:3] offset:3456
	v_lshl_add_u32 v17, v34, 3, v56
	v_addc_co_u32_e64 v14, s[0:1], v20, v14, s[0:1]
	ds_read_b64 v[2:3], v17
	ds_read_b64 v[7:8], v6 offset:3240
	global_load_dwordx2 v[13:14], v[13:14], off offset:3432
	v_mov_b32_e32 v37, v35
	v_lshlrev_b64 v[15:16], 3, v[36:37]
	v_mov_b32_e32 v21, s13
	s_waitcnt lgkmcnt(0)
	v_add_f32_e32 v20, v2, v7
	v_sub_f32_e32 v2, v2, v7
	v_add_f32_e32 v23, v3, v8
	v_sub_f32_e32 v3, v3, v8
	v_mul_f32_e32 v2, 0.5, v2
	v_mul_f32_e32 v7, 0.5, v23
	;; [unrolled: 1-line block ×3, first 2 shown]
	v_lshlrev_b64 v[0:1], 3, v[0:1]
	v_lshl_add_u32 v19, v41, 3, v56
	s_waitcnt vmcnt(3)
	v_mul_f32_e32 v8, v5, v2
	v_fma_f32 v23, v7, v5, v3
	v_fma_f32 v3, v7, v5, -v3
	v_fma_f32 v5, 0.5, v20, v8
	v_fma_f32 v8, v20, 0.5, -v8
	v_fma_f32 v23, -v4, v2, v23
	v_fma_f32 v3, -v4, v2, v3
	v_fmac_f32_e32 v5, v4, v7
	v_fma_f32 v2, -v4, v7, v8
	v_add_co_u32_e64 v7, s[0:1], s12, v15
	ds_write2_b32 v17, v5, v23 offset1:1
	ds_write_b64 v6, v[2:3] offset:3240
	v_addc_co_u32_e64 v8, s[0:1], v21, v16, s[0:1]
	ds_read_b64 v[2:3], v18
	ds_read_b64 v[4:5], v6 offset:3024
	global_load_dwordx2 v[7:8], v[7:8], off offset:3432
	v_add_co_u32_e64 v0, s[0:1], s2, v0
	v_addc_co_u32_e64 v1, s[0:1], v22, v1, s[0:1]
	s_waitcnt lgkmcnt(0)
	v_add_f32_e32 v15, v2, v4
	v_sub_f32_e32 v2, v2, v4
	v_add_f32_e32 v16, v3, v5
	v_sub_f32_e32 v3, v3, v5
	v_mul_f32_e32 v2, 0.5, v2
	v_mul_f32_e32 v4, 0.5, v16
	;; [unrolled: 1-line block ×3, first 2 shown]
	s_waitcnt vmcnt(3)
	v_mul_f32_e32 v5, v10, v2
	v_fma_f32 v16, v4, v10, v3
	v_fma_f32 v3, v4, v10, -v3
	v_fma_f32 v10, 0.5, v15, v5
	v_fma_f32 v16, -v9, v2, v16
	v_fma_f32 v5, v15, 0.5, -v5
	v_fmac_f32_e32 v10, v9, v4
	v_fma_f32 v3, -v9, v2, v3
	v_fma_f32 v2, -v9, v4, v5
	ds_write2_b32 v18, v10, v16 offset1:1
	ds_write_b64 v6, v[2:3] offset:3024
	ds_read_b64 v[2:3], v19
	ds_read_b64 v[4:5], v6 offset:2808
	global_load_dwordx2 v[9:10], v[0:1], off offset:1296
	s_waitcnt lgkmcnt(0)
	v_add_f32_e32 v15, v2, v4
	v_sub_f32_e32 v2, v2, v4
	v_add_f32_e32 v16, v3, v5
	v_sub_f32_e32 v3, v3, v5
	v_mul_f32_e32 v5, 0.5, v2
	v_mul_f32_e32 v4, 0.5, v16
	v_mul_f32_e32 v3, 0.5, v3
	s_waitcnt vmcnt(3)
	v_mul_f32_e32 v2, v12, v5
	v_fma_f32 v16, v4, v12, v3
	v_fma_f32 v17, 0.5, v15, v2
	v_fma_f32 v16, -v11, v5, v16
	v_fma_f32 v2, v15, 0.5, -v2
	v_fmac_f32_e32 v17, v11, v4
	v_fma_f32 v3, v4, v12, -v3
	v_fma_f32 v2, -v11, v4, v2
	v_fma_f32 v3, -v11, v5, v3
	ds_write2_b32 v19, v17, v16 offset1:1
	ds_write_b64 v6, v[2:3] offset:2808
	v_lshl_add_u32 v11, v38, 3, v56
	ds_read_b64 v[2:3], v11
	ds_read_b64 v[4:5], v6 offset:2592
	global_load_dwordx2 v[0:1], v[0:1], off offset:1512
	s_waitcnt lgkmcnt(0)
	v_add_f32_e32 v12, v2, v4
	v_sub_f32_e32 v2, v2, v4
	v_add_f32_e32 v15, v3, v5
	v_sub_f32_e32 v3, v3, v5
	v_mul_f32_e32 v4, 0.5, v2
	v_mul_f32_e32 v15, 0.5, v15
	;; [unrolled: 1-line block ×3, first 2 shown]
	s_waitcnt vmcnt(3)
	v_mul_f32_e32 v2, v14, v4
	v_fma_f32 v5, 0.5, v12, v2
	v_fma_f32 v16, v15, v14, v3
	v_fmac_f32_e32 v5, v13, v15
	v_fma_f32 v16, -v13, v4, v16
	v_fma_f32 v2, v12, 0.5, -v2
	v_fma_f32 v3, v15, v14, -v3
	v_fma_f32 v2, -v13, v15, v2
	v_fma_f32 v3, -v13, v4, v3
	ds_write2_b32 v11, v5, v16 offset1:1
	ds_write_b64 v6, v[2:3] offset:2592
	v_lshl_add_u32 v11, v36, 3, v56
	ds_read_b64 v[2:3], v11
	ds_read_b64 v[4:5], v6 offset:2376
	s_waitcnt lgkmcnt(0)
	v_add_f32_e32 v12, v2, v4
	v_sub_f32_e32 v2, v2, v4
	v_add_f32_e32 v13, v3, v5
	v_sub_f32_e32 v3, v3, v5
	v_mul_f32_e32 v4, 0.5, v2
	v_mul_f32_e32 v13, 0.5, v13
	;; [unrolled: 1-line block ×3, first 2 shown]
	s_waitcnt vmcnt(2)
	v_mul_f32_e32 v2, v8, v4
	v_fma_f32 v5, 0.5, v12, v2
	v_fma_f32 v14, v13, v8, v3
	v_fmac_f32_e32 v5, v7, v13
	v_fma_f32 v14, -v7, v4, v14
	v_fma_f32 v2, v12, 0.5, -v2
	v_fma_f32 v3, v13, v8, -v3
	v_fma_f32 v2, -v7, v13, v2
	v_fma_f32 v3, -v7, v4, v3
	ds_write2_b32 v11, v5, v14 offset1:1
	ds_write_b64 v6, v[2:3] offset:2376
	ds_read_b64 v[2:3], v57 offset:1296
	ds_read_b64 v[4:5], v6 offset:2160
	s_waitcnt lgkmcnt(0)
	v_add_f32_e32 v7, v2, v4
	v_sub_f32_e32 v2, v2, v4
	v_add_f32_e32 v8, v3, v5
	v_sub_f32_e32 v3, v3, v5
	v_mul_f32_e32 v4, 0.5, v2
	v_mul_f32_e32 v8, 0.5, v8
	;; [unrolled: 1-line block ×3, first 2 shown]
	s_waitcnt vmcnt(1)
	v_mul_f32_e32 v2, v10, v4
	v_fma_f32 v5, 0.5, v7, v2
	v_fma_f32 v11, v8, v10, v3
	v_fmac_f32_e32 v5, v9, v8
	v_fma_f32 v11, -v9, v4, v11
	v_fma_f32 v2, v7, 0.5, -v2
	v_fma_f32 v3, v8, v10, -v3
	v_add_u32_e32 v7, 0x400, v57
	v_fma_f32 v2, -v9, v8, v2
	v_fma_f32 v3, -v9, v4, v3
	ds_write2_b32 v7, v5, v11 offset0:68 offset1:69
	ds_write_b64 v6, v[2:3] offset:2160
	ds_read_b64 v[2:3], v57 offset:1512
	ds_read_b64 v[4:5], v6 offset:1944
	s_waitcnt lgkmcnt(0)
	v_add_f32_e32 v8, v2, v4
	v_sub_f32_e32 v2, v2, v4
	v_add_f32_e32 v9, v3, v5
	v_sub_f32_e32 v3, v3, v5
	v_mul_f32_e32 v4, 0.5, v2
	v_mul_f32_e32 v9, 0.5, v9
	;; [unrolled: 1-line block ×3, first 2 shown]
	s_waitcnt vmcnt(0)
	v_mul_f32_e32 v2, v1, v4
	v_fma_f32 v5, 0.5, v8, v2
	v_fma_f32 v10, v9, v1, v3
	v_fmac_f32_e32 v5, v0, v9
	v_fma_f32 v10, -v0, v4, v10
	v_fma_f32 v2, v8, 0.5, -v2
	v_fma_f32 v1, v9, v1, -v3
	v_fma_f32 v2, -v0, v9, v2
	v_fma_f32 v3, -v0, v4, v1
	ds_write2_b32 v7, v5, v10 offset0:122 offset1:123
	ds_write_b64 v6, v[2:3] offset:1944
	s_waitcnt lgkmcnt(0)
	; wave barrier
	s_waitcnt lgkmcnt(0)
	s_and_saveexec_b64 s[0:1], vcc
	s_cbranch_execz .LBB0_30
; %bb.28:
	v_mul_lo_u32 v2, s5, v32
	v_mul_lo_u32 v3, s4, v33
	v_mad_u64_u32 v[0:1], s[0:1], s4, v32, 0
	v_mov_b32_e32 v7, s11
	v_mov_b32_e32 v31, v35
	v_add3_u32 v1, v1, v3, v2
	v_lshlrev_b64 v[0:1], 3, v[0:1]
	v_lshl_add_u32 v2, v30, 3, v56
	v_add_co_u32_e32 v8, vcc, s10, v0
	v_addc_co_u32_e32 v7, vcc, v7, v1, vcc
	v_lshlrev_b64 v[0:1], 3, v[28:29]
	ds_read2_b64 v[3:6], v2 offset1:27
	v_add_co_u32_e32 v0, vcc, v8, v0
	v_addc_co_u32_e32 v1, vcc, v7, v1, vcc
	v_lshlrev_b64 v[7:8], 3, v[30:31]
	v_add_u32_e32 v34, 27, v30
	v_add_co_u32_e32 v7, vcc, v0, v7
	v_addc_co_u32_e32 v8, vcc, v1, v8, vcc
	s_waitcnt lgkmcnt(0)
	global_store_dwordx2 v[7:8], v[3:4], off
	v_lshlrev_b64 v[3:4], 3, v[34:35]
	v_add_u32_e32 v34, 54, v30
	v_add_co_u32_e32 v3, vcc, v0, v3
	v_addc_co_u32_e32 v4, vcc, v1, v4, vcc
	global_store_dwordx2 v[3:4], v[5:6], off
	ds_read2_b64 v[3:6], v2 offset0:54 offset1:81
	v_lshlrev_b64 v[7:8], 3, v[34:35]
	v_add_u32_e32 v34, 0x51, v30
	v_add_co_u32_e32 v7, vcc, v0, v7
	v_addc_co_u32_e32 v8, vcc, v1, v8, vcc
	s_waitcnt lgkmcnt(0)
	global_store_dwordx2 v[7:8], v[3:4], off
	v_lshlrev_b64 v[3:4], 3, v[34:35]
	v_add_u32_e32 v34, 0x6c, v30
	v_add_co_u32_e32 v3, vcc, v0, v3
	v_addc_co_u32_e32 v4, vcc, v1, v4, vcc
	global_store_dwordx2 v[3:4], v[5:6], off
	ds_read2_b64 v[3:6], v2 offset0:108 offset1:135
	;; [unrolled: 12-line block ×4, first 2 shown]
	v_lshlrev_b64 v[7:8], 3, v[34:35]
	v_add_u32_e32 v34, 0xf3, v30
	v_add_co_u32_e32 v7, vcc, v0, v7
	v_addc_co_u32_e32 v8, vcc, v1, v8, vcc
	s_waitcnt lgkmcnt(0)
	global_store_dwordx2 v[7:8], v[3:4], off
	v_lshlrev_b64 v[3:4], 3, v[34:35]
	v_add_u32_e32 v9, 0x800, v2
	v_add_co_u32_e32 v3, vcc, v0, v3
	v_addc_co_u32_e32 v4, vcc, v1, v4, vcc
	global_store_dwordx2 v[3:4], v[5:6], off
	v_add_u32_e32 v34, 0x10e, v30
	ds_read2_b64 v[3:6], v9 offset0:14 offset1:41
	v_lshlrev_b64 v[7:8], 3, v[34:35]
	v_add_u32_e32 v34, 0x129, v30
	v_add_co_u32_e32 v7, vcc, v0, v7
	v_addc_co_u32_e32 v8, vcc, v1, v8, vcc
	s_waitcnt lgkmcnt(0)
	global_store_dwordx2 v[7:8], v[3:4], off
	v_lshlrev_b64 v[3:4], 3, v[34:35]
	v_add_u32_e32 v34, 0x144, v30
	v_add_co_u32_e32 v3, vcc, v0, v3
	v_addc_co_u32_e32 v4, vcc, v1, v4, vcc
	global_store_dwordx2 v[3:4], v[5:6], off
	ds_read2_b64 v[3:6], v9 offset0:68 offset1:95
	v_lshlrev_b64 v[7:8], 3, v[34:35]
	v_add_u32_e32 v34, 0x15f, v30
	v_add_co_u32_e32 v7, vcc, v0, v7
	v_addc_co_u32_e32 v8, vcc, v1, v8, vcc
	s_waitcnt lgkmcnt(0)
	global_store_dwordx2 v[7:8], v[3:4], off
	v_lshlrev_b64 v[3:4], 3, v[34:35]
	v_add_u32_e32 v34, 0x17a, v30
	v_add_co_u32_e32 v3, vcc, v0, v3
	v_addc_co_u32_e32 v4, vcc, v1, v4, vcc
	global_store_dwordx2 v[3:4], v[5:6], off
	ds_read2_b64 v[3:6], v9 offset0:122 offset1:149
	v_lshlrev_b64 v[7:8], 3, v[34:35]
	v_add_u32_e32 v34, 0x195, v30
	v_add_co_u32_e32 v7, vcc, v0, v7
	v_addc_co_u32_e32 v8, vcc, v1, v8, vcc
	s_waitcnt lgkmcnt(0)
	global_store_dwordx2 v[7:8], v[3:4], off
	v_lshlrev_b64 v[3:4], 3, v[34:35]
	v_add_co_u32_e32 v3, vcc, v0, v3
	v_addc_co_u32_e32 v4, vcc, v1, v4, vcc
	v_cmp_eq_u32_e32 vcc, 26, v30
	global_store_dwordx2 v[3:4], v[5:6], off
	s_and_b64 exec, exec, vcc
	s_cbranch_execz .LBB0_30
; %bb.29:
	ds_read_b64 v[2:3], v2 offset:3248
	s_waitcnt lgkmcnt(0)
	global_store_dwordx2 v[0:1], v[2:3], off offset:3456
.LBB0_30:
	s_endpgm
	.section	.rodata,"a",@progbits
	.p2align	6, 0x0
	.amdhsa_kernel fft_rtc_fwd_len432_factors_3_16_3_3_wgs_54_tpt_27_halfLds_sp_op_CI_CI_unitstride_sbrr_R2C_dirReg
		.amdhsa_group_segment_fixed_size 0
		.amdhsa_private_segment_fixed_size 0
		.amdhsa_kernarg_size 104
		.amdhsa_user_sgpr_count 6
		.amdhsa_user_sgpr_private_segment_buffer 1
		.amdhsa_user_sgpr_dispatch_ptr 0
		.amdhsa_user_sgpr_queue_ptr 0
		.amdhsa_user_sgpr_kernarg_segment_ptr 1
		.amdhsa_user_sgpr_dispatch_id 0
		.amdhsa_user_sgpr_flat_scratch_init 0
		.amdhsa_user_sgpr_private_segment_size 0
		.amdhsa_uses_dynamic_stack 0
		.amdhsa_system_sgpr_private_segment_wavefront_offset 0
		.amdhsa_system_sgpr_workgroup_id_x 1
		.amdhsa_system_sgpr_workgroup_id_y 0
		.amdhsa_system_sgpr_workgroup_id_z 0
		.amdhsa_system_sgpr_workgroup_info 0
		.amdhsa_system_vgpr_workitem_id 0
		.amdhsa_next_free_vgpr 83
		.amdhsa_next_free_sgpr 28
		.amdhsa_reserve_vcc 1
		.amdhsa_reserve_flat_scratch 0
		.amdhsa_float_round_mode_32 0
		.amdhsa_float_round_mode_16_64 0
		.amdhsa_float_denorm_mode_32 3
		.amdhsa_float_denorm_mode_16_64 3
		.amdhsa_dx10_clamp 1
		.amdhsa_ieee_mode 1
		.amdhsa_fp16_overflow 0
		.amdhsa_exception_fp_ieee_invalid_op 0
		.amdhsa_exception_fp_denorm_src 0
		.amdhsa_exception_fp_ieee_div_zero 0
		.amdhsa_exception_fp_ieee_overflow 0
		.amdhsa_exception_fp_ieee_underflow 0
		.amdhsa_exception_fp_ieee_inexact 0
		.amdhsa_exception_int_div_zero 0
	.end_amdhsa_kernel
	.text
.Lfunc_end0:
	.size	fft_rtc_fwd_len432_factors_3_16_3_3_wgs_54_tpt_27_halfLds_sp_op_CI_CI_unitstride_sbrr_R2C_dirReg, .Lfunc_end0-fft_rtc_fwd_len432_factors_3_16_3_3_wgs_54_tpt_27_halfLds_sp_op_CI_CI_unitstride_sbrr_R2C_dirReg
                                        ; -- End function
	.section	.AMDGPU.csdata,"",@progbits
; Kernel info:
; codeLenInByte = 9184
; NumSgprs: 32
; NumVgprs: 83
; ScratchSize: 0
; MemoryBound: 0
; FloatMode: 240
; IeeeMode: 1
; LDSByteSize: 0 bytes/workgroup (compile time only)
; SGPRBlocks: 3
; VGPRBlocks: 20
; NumSGPRsForWavesPerEU: 32
; NumVGPRsForWavesPerEU: 83
; Occupancy: 3
; WaveLimiterHint : 1
; COMPUTE_PGM_RSRC2:SCRATCH_EN: 0
; COMPUTE_PGM_RSRC2:USER_SGPR: 6
; COMPUTE_PGM_RSRC2:TRAP_HANDLER: 0
; COMPUTE_PGM_RSRC2:TGID_X_EN: 1
; COMPUTE_PGM_RSRC2:TGID_Y_EN: 0
; COMPUTE_PGM_RSRC2:TGID_Z_EN: 0
; COMPUTE_PGM_RSRC2:TIDIG_COMP_CNT: 0
	.type	__hip_cuid_1795ba2e1a270f89,@object ; @__hip_cuid_1795ba2e1a270f89
	.section	.bss,"aw",@nobits
	.globl	__hip_cuid_1795ba2e1a270f89
__hip_cuid_1795ba2e1a270f89:
	.byte	0                               ; 0x0
	.size	__hip_cuid_1795ba2e1a270f89, 1

	.ident	"AMD clang version 19.0.0git (https://github.com/RadeonOpenCompute/llvm-project roc-6.4.0 25133 c7fe45cf4b819c5991fe208aaa96edf142730f1d)"
	.section	".note.GNU-stack","",@progbits
	.addrsig
	.addrsig_sym __hip_cuid_1795ba2e1a270f89
	.amdgpu_metadata
---
amdhsa.kernels:
  - .args:
      - .actual_access:  read_only
        .address_space:  global
        .offset:         0
        .size:           8
        .value_kind:     global_buffer
      - .offset:         8
        .size:           8
        .value_kind:     by_value
      - .actual_access:  read_only
        .address_space:  global
        .offset:         16
        .size:           8
        .value_kind:     global_buffer
      - .actual_access:  read_only
        .address_space:  global
        .offset:         24
        .size:           8
        .value_kind:     global_buffer
      - .actual_access:  read_only
        .address_space:  global
        .offset:         32
        .size:           8
        .value_kind:     global_buffer
      - .offset:         40
        .size:           8
        .value_kind:     by_value
      - .actual_access:  read_only
        .address_space:  global
        .offset:         48
        .size:           8
        .value_kind:     global_buffer
      - .actual_access:  read_only
        .address_space:  global
        .offset:         56
        .size:           8
        .value_kind:     global_buffer
      - .offset:         64
        .size:           4
        .value_kind:     by_value
      - .actual_access:  read_only
        .address_space:  global
        .offset:         72
        .size:           8
        .value_kind:     global_buffer
      - .actual_access:  read_only
        .address_space:  global
        .offset:         80
        .size:           8
        .value_kind:     global_buffer
      - .actual_access:  read_only
        .address_space:  global
        .offset:         88
        .size:           8
        .value_kind:     global_buffer
      - .actual_access:  write_only
        .address_space:  global
        .offset:         96
        .size:           8
        .value_kind:     global_buffer
    .group_segment_fixed_size: 0
    .kernarg_segment_align: 8
    .kernarg_segment_size: 104
    .language:       OpenCL C
    .language_version:
      - 2
      - 0
    .max_flat_workgroup_size: 54
    .name:           fft_rtc_fwd_len432_factors_3_16_3_3_wgs_54_tpt_27_halfLds_sp_op_CI_CI_unitstride_sbrr_R2C_dirReg
    .private_segment_fixed_size: 0
    .sgpr_count:     32
    .sgpr_spill_count: 0
    .symbol:         fft_rtc_fwd_len432_factors_3_16_3_3_wgs_54_tpt_27_halfLds_sp_op_CI_CI_unitstride_sbrr_R2C_dirReg.kd
    .uniform_work_group_size: 1
    .uses_dynamic_stack: false
    .vgpr_count:     83
    .vgpr_spill_count: 0
    .wavefront_size: 64
amdhsa.target:   amdgcn-amd-amdhsa--gfx906
amdhsa.version:
  - 1
  - 2
...

	.end_amdgpu_metadata
